;; amdgpu-corpus repo=llvm/llvm-project kind=harvested arch=n/a opt=n/a
// NOTE: Assertions have been autogenerated by utils/update_mc_test_checks.py UTC_ARGS: --unique --sort --version 6
// RUN: llvm-mc -triple=amdgcn -mcpu=tahiti %s | FileCheck %s --check-prefix=SI
// RUN: llvm-mc -triple=amdgcn -mcpu=bonaire %s | FileCheck %s --check-prefix=BONAIRE
// RUN: llvm-mc -triple=amdgcn -mcpu=hawaii %s | FileCheck %s --check-prefix=HAWAII
// RUN: llvm-mc -triple=amdgcn -mcpu=kabini  %s | FileCheck %s --check-prefix=KABINI
// RUN: llvm-mc -triple=amdgcn -mcpu=iceland %s | FileCheck %s --check-prefix=ICELAND
// RUN: llvm-mc -triple=amdgcn -mcpu=carrizo %s | FileCheck %s --check-prefix=CARRIZO
// RUN: llvm-mc -triple=amdgcn -mcpu=tonga %s | FileCheck %s --check-prefix=TONGA
// RUN: llvm-mc -triple=amdgcn -mcpu=fiji %s | FileCheck %s --check-prefix=FIJI
// RUN: llvm-mc -triple=amdgcn -mcpu=stoney  %s | FileCheck %s --check-prefix=STONEY

.byte .option.machine_version_major
// BONAIRE: .byte	7
// CARRIZO: .byte	8
// FIJI: .byte	8
// HAWAII: .byte	7
// ICELAND: .byte	8
// KABINI: .byte	7
// SI: .byte	6
// STONEY: .byte	8
// TONGA: .byte	8

.byte .option.machine_version_minor
// BONAIRE: .byte	0
// CARRIZO: .byte	0
// FIJI: .byte	0
// HAWAII: .byte	0
// ICELAND: .byte	0
// KABINI: .byte	0
// SI: .byte	0
// STONEY: .byte	1
// TONGA: .byte	0

.byte .option.machine_version_stepping
// BONAIRE: .byte	4
// CARRIZO: .byte	1
// FIJI: .byte	3
// HAWAII: .byte	1
// ICELAND: .byte	2
// KABINI: .byte	3
// SI: .byte	0
// STONEY: .byte	0
// TONGA: .byte	2
